;; amdgpu-corpus repo=ROCm/rocFFT kind=compiled arch=gfx90a opt=O3
	.text
	.amdgcn_target "amdgcn-amd-amdhsa--gfx90a"
	.amdhsa_code_object_version 6
	.protected	fft_rtc_fwd_len4096_factors_16_16_16_wgs_256_tpt_256_halfLds_half_op_CI_CI_unitstride_sbrr_dirReg ; -- Begin function fft_rtc_fwd_len4096_factors_16_16_16_wgs_256_tpt_256_halfLds_half_op_CI_CI_unitstride_sbrr_dirReg
	.globl	fft_rtc_fwd_len4096_factors_16_16_16_wgs_256_tpt_256_halfLds_half_op_CI_CI_unitstride_sbrr_dirReg
	.p2align	8
	.type	fft_rtc_fwd_len4096_factors_16_16_16_wgs_256_tpt_256_halfLds_half_op_CI_CI_unitstride_sbrr_dirReg,@function
fft_rtc_fwd_len4096_factors_16_16_16_wgs_256_tpt_256_halfLds_half_op_CI_CI_unitstride_sbrr_dirReg: ; @fft_rtc_fwd_len4096_factors_16_16_16_wgs_256_tpt_256_halfLds_half_op_CI_CI_unitstride_sbrr_dirReg
; %bb.0:
	s_load_dwordx4 s[8:11], s[4:5], 0x58
	s_load_dwordx4 s[12:15], s[4:5], 0x0
	;; [unrolled: 1-line block ×3, first 2 shown]
	v_mov_b32_e32 v4, 0
	v_mov_b32_e32 v10, s6
	v_mov_b32_e32 v11, v4
	s_waitcnt lgkmcnt(0)
	v_cmp_lt_u64_e64 s[0:1], s[14:15], 2
	s_and_b64 vcc, exec, s[0:1]
	v_pk_mov_b32 v[8:9], 0, 0
	s_cbranch_vccnz .LBB0_8
; %bb.1:
	s_load_dwordx2 s[0:1], s[4:5], 0x10
	s_add_u32 s2, s18, 8
	s_addc_u32 s3, s19, 0
	s_add_u32 s6, s16, 8
	s_addc_u32 s7, s17, 0
	s_waitcnt lgkmcnt(0)
	s_add_u32 s20, s0, 8
	v_pk_mov_b32 v[8:9], 0, 0
	s_addc_u32 s21, s1, 0
	s_mov_b64 s[22:23], 1
	v_pk_mov_b32 v[2:3], v[8:9], v[8:9] op_sel:[0,1]
.LBB0_2:                                ; =>This Inner Loop Header: Depth=1
	s_load_dwordx2 s[24:25], s[20:21], 0x0
                                        ; implicit-def: $vgpr6_vgpr7
	s_waitcnt lgkmcnt(0)
	v_or_b32_e32 v5, s25, v11
	v_cmp_ne_u64_e32 vcc, 0, v[4:5]
	s_and_saveexec_b64 s[0:1], vcc
	s_xor_b64 s[26:27], exec, s[0:1]
	s_cbranch_execz .LBB0_4
; %bb.3:                                ;   in Loop: Header=BB0_2 Depth=1
	v_cvt_f32_u32_e32 v1, s24
	v_cvt_f32_u32_e32 v5, s25
	s_sub_u32 s0, 0, s24
	s_subb_u32 s1, 0, s25
	v_mac_f32_e32 v1, 0x4f800000, v5
	v_rcp_f32_e32 v1, v1
	v_mul_f32_e32 v1, 0x5f7ffffc, v1
	v_mul_f32_e32 v5, 0x2f800000, v1
	v_trunc_f32_e32 v5, v5
	v_mac_f32_e32 v1, 0xcf800000, v5
	v_cvt_u32_f32_e32 v5, v5
	v_cvt_u32_f32_e32 v1, v1
	v_mul_lo_u32 v6, s0, v5
	v_mul_hi_u32 v12, s0, v1
	v_mul_lo_u32 v7, s1, v1
	v_add_u32_e32 v6, v12, v6
	v_mul_lo_u32 v13, s0, v1
	v_add_u32_e32 v6, v6, v7
	v_mul_hi_u32 v12, v1, v13
	v_mul_lo_u32 v14, v1, v6
	v_mul_hi_u32 v7, v1, v6
	v_add_co_u32_e32 v12, vcc, v12, v14
	v_addc_co_u32_e32 v7, vcc, 0, v7, vcc
	v_mul_hi_u32 v15, v5, v13
	v_mul_lo_u32 v13, v5, v13
	v_add_co_u32_e32 v12, vcc, v12, v13
	v_mul_hi_u32 v14, v5, v6
	v_addc_co_u32_e32 v7, vcc, v7, v15, vcc
	v_addc_co_u32_e32 v12, vcc, 0, v14, vcc
	v_mul_lo_u32 v6, v5, v6
	v_add_co_u32_e32 v6, vcc, v7, v6
	v_addc_co_u32_e32 v7, vcc, 0, v12, vcc
	v_add_co_u32_e32 v1, vcc, v1, v6
	v_addc_co_u32_e32 v5, vcc, v5, v7, vcc
	v_mul_lo_u32 v6, s0, v5
	v_mul_hi_u32 v7, s0, v1
	v_add_u32_e32 v6, v7, v6
	v_mul_lo_u32 v7, s1, v1
	v_add_u32_e32 v6, v6, v7
	v_mul_lo_u32 v12, s0, v1
	v_mul_hi_u32 v13, v5, v12
	v_mul_lo_u32 v14, v5, v12
	v_mul_lo_u32 v16, v1, v6
	v_mul_hi_u32 v12, v1, v12
	v_mul_hi_u32 v15, v1, v6
	v_add_co_u32_e32 v12, vcc, v12, v16
	v_addc_co_u32_e32 v15, vcc, 0, v15, vcc
	v_add_co_u32_e32 v12, vcc, v12, v14
	v_mul_hi_u32 v7, v5, v6
	v_addc_co_u32_e32 v12, vcc, v15, v13, vcc
	v_addc_co_u32_e32 v7, vcc, 0, v7, vcc
	v_mul_lo_u32 v6, v5, v6
	v_add_co_u32_e32 v6, vcc, v12, v6
	v_addc_co_u32_e32 v7, vcc, 0, v7, vcc
	v_add_co_u32_e32 v1, vcc, v1, v6
	v_addc_co_u32_e32 v5, vcc, v5, v7, vcc
	v_mad_u64_u32 v[6:7], s[0:1], v10, v5, 0
	v_mul_hi_u32 v12, v10, v1
	v_add_co_u32_e32 v14, vcc, v12, v6
	v_addc_co_u32_e32 v15, vcc, 0, v7, vcc
	v_mad_u64_u32 v[12:13], s[0:1], v11, v1, 0
	v_add_co_u32_e32 v1, vcc, v14, v12
	v_mad_u64_u32 v[6:7], s[0:1], v11, v5, 0
	v_addc_co_u32_e32 v1, vcc, v15, v13, vcc
	v_addc_co_u32_e32 v5, vcc, 0, v7, vcc
	v_add_co_u32_e32 v1, vcc, v1, v6
	v_addc_co_u32_e32 v5, vcc, 0, v5, vcc
	v_mul_lo_u32 v12, s25, v1
	v_mul_lo_u32 v13, s24, v5
	v_mad_u64_u32 v[6:7], s[0:1], s24, v1, 0
	v_add3_u32 v7, v7, v13, v12
	v_sub_u32_e32 v12, v11, v7
	v_mov_b32_e32 v13, s25
	v_sub_co_u32_e32 v6, vcc, v10, v6
	v_subb_co_u32_e64 v12, s[0:1], v12, v13, vcc
	v_subrev_co_u32_e64 v13, s[0:1], s24, v6
	v_subbrev_co_u32_e64 v12, s[0:1], 0, v12, s[0:1]
	v_cmp_le_u32_e64 s[0:1], s25, v12
	v_cndmask_b32_e64 v14, 0, -1, s[0:1]
	v_cmp_le_u32_e64 s[0:1], s24, v13
	v_cndmask_b32_e64 v13, 0, -1, s[0:1]
	v_cmp_eq_u32_e64 s[0:1], s25, v12
	v_cndmask_b32_e64 v12, v14, v13, s[0:1]
	v_add_co_u32_e64 v13, s[0:1], 2, v1
	v_addc_co_u32_e64 v14, s[0:1], 0, v5, s[0:1]
	v_add_co_u32_e64 v15, s[0:1], 1, v1
	v_addc_co_u32_e64 v16, s[0:1], 0, v5, s[0:1]
	v_subb_co_u32_e32 v7, vcc, v11, v7, vcc
	v_cmp_ne_u32_e64 s[0:1], 0, v12
	v_cmp_le_u32_e32 vcc, s25, v7
	v_cndmask_b32_e64 v12, v16, v14, s[0:1]
	v_cndmask_b32_e64 v14, 0, -1, vcc
	v_cmp_le_u32_e32 vcc, s24, v6
	v_cndmask_b32_e64 v6, 0, -1, vcc
	v_cmp_eq_u32_e32 vcc, s25, v7
	v_cndmask_b32_e32 v6, v14, v6, vcc
	v_cmp_ne_u32_e32 vcc, 0, v6
	v_cndmask_b32_e32 v7, v5, v12, vcc
	v_cndmask_b32_e64 v5, v15, v13, s[0:1]
	v_cndmask_b32_e32 v6, v1, v5, vcc
.LBB0_4:                                ;   in Loop: Header=BB0_2 Depth=1
	s_andn2_saveexec_b64 s[0:1], s[26:27]
	s_cbranch_execz .LBB0_6
; %bb.5:                                ;   in Loop: Header=BB0_2 Depth=1
	v_cvt_f32_u32_e32 v1, s24
	s_sub_i32 s26, 0, s24
	v_rcp_iflag_f32_e32 v1, v1
	v_mul_f32_e32 v1, 0x4f7ffffe, v1
	v_cvt_u32_f32_e32 v1, v1
	v_mul_lo_u32 v5, s26, v1
	v_mul_hi_u32 v5, v1, v5
	v_add_u32_e32 v1, v1, v5
	v_mul_hi_u32 v1, v10, v1
	v_mul_lo_u32 v5, v1, s24
	v_sub_u32_e32 v5, v10, v5
	v_add_u32_e32 v6, 1, v1
	v_subrev_u32_e32 v7, s24, v5
	v_cmp_le_u32_e32 vcc, s24, v5
	v_cndmask_b32_e32 v5, v5, v7, vcc
	v_cndmask_b32_e32 v1, v1, v6, vcc
	v_add_u32_e32 v6, 1, v1
	v_cmp_le_u32_e32 vcc, s24, v5
	v_cndmask_b32_e32 v6, v1, v6, vcc
	v_mov_b32_e32 v7, v4
.LBB0_6:                                ;   in Loop: Header=BB0_2 Depth=1
	s_or_b64 exec, exec, s[0:1]
	v_mad_u64_u32 v[12:13], s[0:1], v6, s24, 0
	s_load_dwordx2 s[0:1], s[6:7], 0x0
	v_mul_lo_u32 v1, v7, s24
	v_mul_lo_u32 v5, v6, s25
	s_load_dwordx2 s[24:25], s[2:3], 0x0
	s_add_u32 s22, s22, 1
	v_add3_u32 v1, v13, v5, v1
	v_sub_co_u32_e32 v5, vcc, v10, v12
	s_addc_u32 s23, s23, 0
	v_subb_co_u32_e32 v1, vcc, v11, v1, vcc
	s_add_u32 s2, s2, 8
	s_waitcnt lgkmcnt(0)
	v_mul_lo_u32 v10, s0, v1
	v_mul_lo_u32 v11, s1, v5
	v_mad_u64_u32 v[8:9], s[0:1], s0, v5, v[8:9]
	s_addc_u32 s3, s3, 0
	v_add3_u32 v9, v11, v9, v10
	v_mul_lo_u32 v1, s24, v1
	v_mul_lo_u32 v10, s25, v5
	v_mad_u64_u32 v[2:3], s[0:1], s24, v5, v[2:3]
	s_add_u32 s6, s6, 8
	v_add3_u32 v3, v10, v3, v1
	s_addc_u32 s7, s7, 0
	v_pk_mov_b32 v[10:11], s[14:15], s[14:15] op_sel:[0,1]
	s_add_u32 s20, s20, 8
	v_cmp_ge_u64_e32 vcc, s[22:23], v[10:11]
	s_addc_u32 s21, s21, 0
	s_cbranch_vccnz .LBB0_9
; %bb.7:                                ;   in Loop: Header=BB0_2 Depth=1
	v_pk_mov_b32 v[10:11], v[6:7], v[6:7] op_sel:[0,1]
	s_branch .LBB0_2
.LBB0_8:
	v_pk_mov_b32 v[2:3], v[8:9], v[8:9] op_sel:[0,1]
	v_pk_mov_b32 v[6:7], v[10:11], v[10:11] op_sel:[0,1]
.LBB0_9:
	s_load_dwordx2 s[0:1], s[4:5], 0x28
	s_lshl_b64 s[6:7], s[14:15], 3
	s_add_u32 s2, s18, s6
	s_addc_u32 s3, s19, s7
                                        ; implicit-def: $sgpr14
	s_waitcnt lgkmcnt(0)
	v_cmp_gt_u64_e32 vcc, s[0:1], v[6:7]
	v_cmp_le_u64_e64 s[0:1], s[0:1], v[6:7]
	s_and_saveexec_b64 s[4:5], s[0:1]
	s_xor_b64 s[0:1], exec, s[4:5]
; %bb.10:
	s_mov_b32 s14, 0
                                        ; implicit-def: $vgpr8_vgpr9
; %bb.11:
	s_or_saveexec_b64 s[4:5], s[0:1]
	v_mov_b32_e32 v4, s14
	v_mov_b32_e32 v26, s14
	;; [unrolled: 1-line block ×9, first 2 shown]
                                        ; implicit-def: $vgpr29
                                        ; implicit-def: $vgpr13
                                        ; implicit-def: $vgpr20
                                        ; implicit-def: $vgpr5
                                        ; implicit-def: $vgpr28
                                        ; implicit-def: $vgpr12
                                        ; implicit-def: $vgpr17
                                        ; implicit-def: $vgpr1
                                        ; implicit-def: $vgpr31
                                        ; implicit-def: $vgpr16
                                        ; implicit-def: $vgpr25
                                        ; implicit-def: $vgpr11
                                        ; implicit-def: $vgpr30
                                        ; implicit-def: $vgpr14
                                        ; implicit-def: $vgpr21
                                        ; implicit-def: $vgpr10
	s_xor_b64 exec, exec, s[4:5]
	s_cbranch_execz .LBB0_13
; %bb.12:
	s_add_u32 s0, s16, s6
	s_addc_u32 s1, s17, s7
	s_load_dwordx2 s[0:1], s[0:1], 0x0
	v_mov_b32_e32 v1, s9
	s_waitcnt lgkmcnt(0)
	v_mul_lo_u32 v10, s1, v6
	v_mul_lo_u32 v11, s0, v7
	v_mad_u64_u32 v[4:5], s[0:1], s0, v6, 0
	v_add3_u32 v5, v5, v11, v10
	v_lshlrev_b64 v[4:5], 2, v[4:5]
	v_add_co_u32_e64 v10, s[0:1], s8, v4
	v_addc_co_u32_e64 v1, s[0:1], v1, v5, s[0:1]
	v_lshlrev_b64 v[4:5], 2, v[8:9]
	v_add_co_u32_e64 v4, s[0:1], v10, v4
	v_addc_co_u32_e64 v1, s[0:1], v1, v5, s[0:1]
	v_lshlrev_b32_e32 v5, 2, v0
	v_add_co_u32_e64 v8, s[0:1], v4, v5
	v_addc_co_u32_e64 v9, s[0:1], 0, v1, s[0:1]
	v_or_b32_e32 v10, 0xc00, v5
	v_add_co_u32_e64 v20, s[0:1], v4, v10
	v_addc_co_u32_e64 v21, s[0:1], 0, v1, s[0:1]
	v_or_b32_e32 v10, 0x1000, v5
	;; [unrolled: 3-line block ×13, first 2 shown]
	v_add_co_u32_e64 v48, s[0:1], v4, v5
	v_addc_co_u32_e64 v49, s[0:1], 0, v1, s[0:1]
	global_load_dword v13, v[34:35], off
	global_load_dword v5, v[36:37], off
	global_load_dword v12, v[38:39], off
	global_load_dword v1, v[40:41], off
	global_load_dword v16, v[42:43], off
	global_load_dword v11, v[44:45], off
	global_load_dword v14, v[46:47], off
	global_load_dword v10, v[48:49], off
	global_load_dword v26, v[8:9], off
	global_load_dword v18, v[8:9], off offset:1024
	global_load_dword v22, v[8:9], off offset:2048
	global_load_dword v15, v[20:21], off
	global_load_dword v27, v[24:25], off
	;; [unrolled: 1-line block ×4, first 2 shown]
                                        ; kill: killed $vgpr24 killed $vgpr25
                                        ; kill: killed $vgpr38 killed $vgpr39
                                        ; kill: killed $vgpr42 killed $vgpr43
                                        ; kill: killed $vgpr20 killed $vgpr21
                                        ; kill: killed $vgpr46 killed $vgpr47
                                        ; kill: killed $vgpr30 killed $vgpr31
                                        ; kill: killed $vgpr8 killed $vgpr9
                                        ; kill: killed $vgpr28 killed $vgpr29
                                        ; kill: killed $vgpr36 killed $vgpr37
                                        ; kill: killed $vgpr34 killed $vgpr35
                                        ; kill: killed $vgpr40 killed $vgpr41
                                        ; kill: killed $vgpr44 killed $vgpr45
                                        ; kill: killed $vgpr48 killed $vgpr49
	s_nop 0
	global_load_dword v24, v[32:33], off
	v_mov_b32_e32 v4, v0
	s_waitcnt vmcnt(15)
	v_lshrrev_b32_e32 v29, 16, v13
	s_waitcnt vmcnt(14)
	v_lshrrev_b32_e32 v20, 16, v5
	;; [unrolled: 2-line block ×8, first 2 shown]
.LBB0_13:
	s_or_b64 exec, exec, s[4:5]
	s_waitcnt vmcnt(7)
	v_lshrrev_b32_e32 v8, 16, v26
	v_sub_f16_e32 v9, v26, v13
	v_sub_f16_e32 v13, v8, v29
	s_waitcnt vmcnt(3)
	v_lshrrev_b32_e32 v29, 16, v27
	v_lshrrev_b32_e32 v32, 16, v22
	s_waitcnt vmcnt(1)
	v_lshrrev_b32_e32 v33, 16, v23
	v_sub_f16_e32 v16, v27, v16
	v_sub_f16_e32 v31, v29, v31
	;; [unrolled: 1-line block ×6, first 2 shown]
	v_fma_f16 v27, v27, 2.0, -v16
	v_fma_f16 v29, v29, 2.0, -v31
	;; [unrolled: 1-line block ×4, first 2 shown]
	v_lshrrev_b32_e32 v34, 16, v18
	v_lshrrev_b32_e32 v35, 16, v19
	;; [unrolled: 1-line block ×3, first 2 shown]
	s_waitcnt vmcnt(0)
	v_lshrrev_b32_e32 v37, 16, v24
	v_sub_f16_e32 v31, v9, v31
	v_add_f16_e32 v16, v13, v16
	v_sub_f16_e32 v30, v12, v30
	v_add_f16_e32 v14, v28, v14
	s_load_dwordx2 s[0:1], s[2:3], 0x0
	v_fma_f16 v26, v26, 2.0, -v9
	v_fma_f16 v8, v8, 2.0, -v13
	;; [unrolled: 1-line block ×4, first 2 shown]
	v_sub_f16_e32 v5, v18, v5
	v_sub_f16_e32 v20, v34, v20
	;; [unrolled: 1-line block ×8, first 2 shown]
	v_fma_f16 v9, v9, 2.0, -v31
	v_fma_f16 v13, v13, 2.0, -v16
	;; [unrolled: 1-line block ×4, first 2 shown]
	s_mov_b32 s2, 0xb9a8
	v_fma_f16 v19, v19, 2.0, -v11
	v_fma_f16 v35, v35, 2.0, -v25
	;; [unrolled: 1-line block ×4, first 2 shown]
	v_sub_f16_e32 v25, v5, v25
	v_add_f16_e32 v11, v20, v11
	v_sub_f16_e32 v21, v1, v21
	v_add_f16_e32 v10, v17, v10
	v_fma_f16 v38, v12, s2, v9
	v_fma_f16 v39, v28, s2, v13
	s_movk_i32 s3, 0x39a8
	v_fma_f16 v18, v18, 2.0, -v5
	v_fma_f16 v34, v34, 2.0, -v20
	v_fma_f16 v15, v15, 2.0, -v1
	v_fma_f16 v36, v36, 2.0, -v17
	v_fma_f16 v5, v5, 2.0, -v25
	v_fma_f16 v20, v20, 2.0, -v11
	v_fma_f16 v1, v1, 2.0, -v21
	v_fma_f16 v17, v17, 2.0, -v10
	v_fma_f16 v28, v28, s2, v38
	v_fma_f16 v12, v12, s3, v39
	v_fma_f16 v38, v30, s3, v31
	v_fma_f16 v39, v14, s3, v16
	v_fma_f16 v14, v14, s2, v38
	v_fma_f16 v30, v30, s3, v39
	v_fma_f16 v38, v1, s2, v5
	v_fma_f16 v39, v17, s2, v20
	v_sub_f16_e32 v27, v26, v27
	v_sub_f16_e32 v33, v32, v33
	;; [unrolled: 1-line block ×4, first 2 shown]
	v_fma_f16 v17, v17, s2, v38
	v_fma_f16 v1, v1, s3, v39
	v_sub_f16_e32 v29, v8, v29
	v_sub_f16_e32 v23, v22, v23
	v_fma_f16 v32, v32, 2.0, -v33
	v_sub_f16_e32 v35, v34, v35
	v_sub_f16_e32 v24, v15, v24
	v_fma_f16 v36, v36, 2.0, -v37
	v_fma_f16 v9, v9, 2.0, -v28
	;; [unrolled: 1-line block ×3, first 2 shown]
	v_sub_f16_e32 v33, v27, v33
	v_fma_f16 v5, v5, 2.0, -v17
	v_fma_f16 v20, v20, 2.0, -v1
	v_sub_f16_e32 v37, v19, v37
	v_fma_f16 v38, v21, s3, v25
	v_fma_f16 v39, v10, s3, v11
	s_mov_b32 s4, 0xbb64
	v_fma_f16 v26, v26, 2.0, -v27
	v_fma_f16 v22, v22, 2.0, -v23
	;; [unrolled: 1-line block ×4, first 2 shown]
	v_add_f16_e32 v23, v29, v23
	v_fma_f16 v27, v27, 2.0, -v33
	v_add_f16_e32 v24, v35, v24
	v_fma_f16 v19, v19, 2.0, -v37
	v_fma_f16 v10, v10, s2, v38
	v_fma_f16 v21, v21, s3, v39
	;; [unrolled: 1-line block ×4, first 2 shown]
	s_mov_b32 s6, 0xb61f
	s_movk_i32 s5, 0x361f
	v_fma_f16 v8, v8, 2.0, -v29
	v_fma_f16 v34, v34, 2.0, -v35
	;; [unrolled: 1-line block ×6, first 2 shown]
	v_fma_f16 v20, v20, s6, v38
	v_fma_f16 v38, v5, s5, v39
	v_fma_f16 v5, v19, s2, v27
	v_fma_f16 v16, v16, 2.0, -v30
	v_fma_f16 v11, v11, 2.0, -v21
	v_fma_f16 v39, v35, s2, v29
	v_fma_f16 v35, v35, s2, v5
	;; [unrolled: 1-line block ×3, first 2 shown]
	v_sub_f16_e32 v22, v26, v22
	v_sub_f16_e32 v15, v18, v15
	v_fma_f16 v19, v19, s3, v39
	v_fma_f16 v39, v11, s6, v16
	;; [unrolled: 1-line block ×3, first 2 shown]
	s_movk_i32 s7, 0x3b64
	v_fma_f16 v5, v17, s5, v28
	v_fma_f16 v26, v26, 2.0, -v22
	v_fma_f16 v18, v18, 2.0, -v15
	v_fma_f16 v25, v25, s7, v39
	v_fma_f16 v39, v1, s5, v12
	;; [unrolled: 1-line block ×4, first 2 shown]
	v_sub_f16_e32 v36, v34, v36
	v_sub_f16_e32 v18, v26, v18
	v_fma_f16 v17, v17, s7, v39
	v_fma_f16 v39, v24, s3, v23
	;; [unrolled: 1-line block ×4, first 2 shown]
	v_fma_f16 v34, v34, 2.0, -v36
	v_fma_f16 v26, v26, 2.0, -v18
	;; [unrolled: 1-line block ×5, first 2 shown]
	v_sub_f16_e32 v36, v22, v36
	v_fma_f16 v37, v37, s3, v39
	v_fma_f16 v39, v21, s7, v30
	;; [unrolled: 1-line block ×3, first 2 shown]
	v_sub_f16_e32 v32, v8, v32
	v_fma_f16 v22, v22, 2.0, -v36
	v_fma_f16 v28, v28, 2.0, -v1
	;; [unrolled: 1-line block ×4, first 2 shown]
	v_lshl_add_u32 v5, v0, 5, 0
	v_pack_b32_f16 v27, v27, v31
	v_pack_b32_f16 v9, v26, v9
	v_fma_f16 v8, v8, 2.0, -v32
	ds_write2_b32 v5, v9, v27 offset1:1
	v_pack_b32_f16 v9, v33, v14
	v_pack_b32_f16 v14, v22, v28
	v_sub_f16_e32 v34, v8, v34
	ds_write2_b32 v5, v14, v9 offset0:2 offset1:3
	v_pack_b32_f16 v9, v35, v11
	v_pack_b32_f16 v11, v18, v20
	v_fma_f16 v8, v8, 2.0, -v34
	v_fma_f16 v13, v13, 2.0, -v38
	;; [unrolled: 1-line block ×4, first 2 shown]
	v_add_f16_e32 v15, v32, v15
	v_fma_f16 v10, v10, s5, v39
	ds_write2_b32 v5, v11, v9 offset0:4 offset1:5
	v_pack_b32_f16 v9, v24, v21
	v_pack_b32_f16 v1, v36, v1
	s_movk_i32 s8, 0xffe2
	v_fma_f16 v32, v32, 2.0, -v15
	v_fma_f16 v12, v12, 2.0, -v17
	;; [unrolled: 1-line block ×4, first 2 shown]
	ds_write2_b32 v5, v1, v9 offset0:6 offset1:7
	v_mad_i32_i24 v1, v0, s8, v5
	v_pack_b32_f16 v9, v29, v16
	v_pack_b32_f16 v8, v8, v13
	s_waitcnt lgkmcnt(0)
	s_barrier
	ds_read_u16 v24, v1
	ds_read_u16 v26, v1 offset:512
	ds_read_u16 v27, v1 offset:1024
	;; [unrolled: 1-line block ×15, first 2 shown]
	s_waitcnt lgkmcnt(0)
	s_barrier
	ds_write2_b32 v5, v8, v9 offset1:1
	v_pack_b32_f16 v8, v23, v30
	v_pack_b32_f16 v9, v32, v12
	ds_write2_b32 v5, v9, v8 offset0:2 offset1:3
	v_pack_b32_f16 v8, v19, v25
	v_pack_b32_f16 v9, v34, v38
	ds_write2_b32 v5, v9, v8 offset0:4 offset1:5
	;; [unrolled: 3-line block ×3, first 2 shown]
	v_and_b32_e32 v8, 15, v0
	v_mul_u32_u24_e32 v8, 15, v8
	v_lshlrev_b32_e32 v23, 2, v8
	s_waitcnt lgkmcnt(0)
	s_barrier
	global_load_dwordx4 v[8:11], v23, s[12:13]
	global_load_dwordx4 v[12:15], v23, s[12:13] offset:16
	global_load_dwordx4 v[16:19], v23, s[12:13] offset:32
	global_load_dwordx3 v[20:22], v23, s[12:13] offset:48
	ds_read_u16 v23, v1
	ds_read_u16 v25, v1 offset:512
	ds_read_u16 v29, v1 offset:1024
	;; [unrolled: 1-line block ×15, first 2 shown]
	s_waitcnt lgkmcnt(0)
	s_barrier
	s_waitcnt vmcnt(3)
	v_mul_f16_sdwa v55, v25, v8 dst_sel:DWORD dst_unused:UNUSED_PAD src0_sel:DWORD src1_sel:WORD_1
	v_fma_f16 v55, v26, v8, -v55
	v_mul_f16_sdwa v26, v26, v8 dst_sel:DWORD dst_unused:UNUSED_PAD src0_sel:DWORD src1_sel:WORD_1
	v_fma_f16 v8, v25, v8, v26
	v_mul_f16_sdwa v25, v29, v9 dst_sel:DWORD dst_unused:UNUSED_PAD src0_sel:DWORD src1_sel:WORD_1
	v_mul_f16_sdwa v26, v27, v9 dst_sel:DWORD dst_unused:UNUSED_PAD src0_sel:DWORD src1_sel:WORD_1
	v_fma_f16 v25, v27, v9, -v25
	v_fma_f16 v9, v29, v9, v26
	v_mul_f16_sdwa v26, v30, v10 dst_sel:DWORD dst_unused:UNUSED_PAD src0_sel:DWORD src1_sel:WORD_1
	v_mul_f16_sdwa v27, v28, v10 dst_sel:DWORD dst_unused:UNUSED_PAD src0_sel:DWORD src1_sel:WORD_1
	v_fma_f16 v26, v28, v10, -v26
	v_fma_f16 v10, v30, v10, v27
	v_mul_f16_sdwa v27, v32, v11 dst_sel:DWORD dst_unused:UNUSED_PAD src0_sel:DWORD src1_sel:WORD_1
	v_mul_f16_sdwa v28, v31, v11 dst_sel:DWORD dst_unused:UNUSED_PAD src0_sel:DWORD src1_sel:WORD_1
	v_fma_f16 v27, v31, v11, -v27
	v_fma_f16 v11, v32, v11, v28
	s_waitcnt vmcnt(2)
	v_mul_f16_sdwa v28, v34, v12 dst_sel:DWORD dst_unused:UNUSED_PAD src0_sel:DWORD src1_sel:WORD_1
	v_mul_f16_sdwa v29, v33, v12 dst_sel:DWORD dst_unused:UNUSED_PAD src0_sel:DWORD src1_sel:WORD_1
	v_fma_f16 v28, v33, v12, -v28
	v_fma_f16 v12, v34, v12, v29
	v_mul_f16_sdwa v29, v37, v13 dst_sel:DWORD dst_unused:UNUSED_PAD src0_sel:DWORD src1_sel:WORD_1
	v_mul_f16_sdwa v30, v35, v13 dst_sel:DWORD dst_unused:UNUSED_PAD src0_sel:DWORD src1_sel:WORD_1
	v_fma_f16 v29, v35, v13, -v29
	v_fma_f16 v13, v37, v13, v30
	v_mul_f16_sdwa v30, v38, v14 dst_sel:DWORD dst_unused:UNUSED_PAD src0_sel:DWORD src1_sel:WORD_1
	v_mul_f16_sdwa v31, v36, v14 dst_sel:DWORD dst_unused:UNUSED_PAD src0_sel:DWORD src1_sel:WORD_1
	v_fma_f16 v30, v36, v14, -v30
	v_fma_f16 v14, v38, v14, v31
	v_mul_f16_sdwa v31, v47, v15 dst_sel:DWORD dst_unused:UNUSED_PAD src0_sel:DWORD src1_sel:WORD_1
	v_mul_f16_sdwa v32, v39, v15 dst_sel:DWORD dst_unused:UNUSED_PAD src0_sel:DWORD src1_sel:WORD_1
	v_fma_f16 v31, v39, v15, -v31
	v_fma_f16 v15, v47, v15, v32
	s_waitcnt vmcnt(1)
	v_mul_f16_sdwa v32, v48, v16 dst_sel:DWORD dst_unused:UNUSED_PAD src0_sel:DWORD src1_sel:WORD_1
	v_mul_f16_sdwa v33, v40, v16 dst_sel:DWORD dst_unused:UNUSED_PAD src0_sel:DWORD src1_sel:WORD_1
	v_fma_f16 v32, v40, v16, -v32
	v_fma_f16 v16, v48, v16, v33
	v_mul_f16_sdwa v33, v49, v17 dst_sel:DWORD dst_unused:UNUSED_PAD src0_sel:DWORD src1_sel:WORD_1
	v_mul_f16_sdwa v34, v41, v17 dst_sel:DWORD dst_unused:UNUSED_PAD src0_sel:DWORD src1_sel:WORD_1
	v_fma_f16 v33, v41, v17, -v33
	v_fma_f16 v17, v49, v17, v34
	v_mul_f16_sdwa v34, v50, v18 dst_sel:DWORD dst_unused:UNUSED_PAD src0_sel:DWORD src1_sel:WORD_1
	v_mul_f16_sdwa v35, v42, v18 dst_sel:DWORD dst_unused:UNUSED_PAD src0_sel:DWORD src1_sel:WORD_1
	v_fma_f16 v34, v42, v18, -v34
	v_fma_f16 v18, v50, v18, v35
	v_mul_f16_sdwa v35, v51, v19 dst_sel:DWORD dst_unused:UNUSED_PAD src0_sel:DWORD src1_sel:WORD_1
	v_mul_f16_sdwa v36, v43, v19 dst_sel:DWORD dst_unused:UNUSED_PAD src0_sel:DWORD src1_sel:WORD_1
	v_fma_f16 v35, v43, v19, -v35
	v_fma_f16 v19, v51, v19, v36
	s_waitcnt vmcnt(0)
	v_mul_f16_sdwa v36, v52, v20 dst_sel:DWORD dst_unused:UNUSED_PAD src0_sel:DWORD src1_sel:WORD_1
	v_mul_f16_sdwa v37, v44, v20 dst_sel:DWORD dst_unused:UNUSED_PAD src0_sel:DWORD src1_sel:WORD_1
	v_fma_f16 v36, v44, v20, -v36
	v_fma_f16 v20, v52, v20, v37
	v_mul_f16_sdwa v37, v53, v21 dst_sel:DWORD dst_unused:UNUSED_PAD src0_sel:DWORD src1_sel:WORD_1
	v_mul_f16_sdwa v38, v45, v21 dst_sel:DWORD dst_unused:UNUSED_PAD src0_sel:DWORD src1_sel:WORD_1
	v_fma_f16 v37, v45, v21, -v37
	v_fma_f16 v21, v53, v21, v38
	v_mul_f16_sdwa v38, v54, v22 dst_sel:DWORD dst_unused:UNUSED_PAD src0_sel:DWORD src1_sel:WORD_1
	v_mul_f16_sdwa v39, v46, v22 dst_sel:DWORD dst_unused:UNUSED_PAD src0_sel:DWORD src1_sel:WORD_1
	v_fma_f16 v38, v46, v22, -v38
	v_fma_f16 v22, v54, v22, v39
	v_sub_f16_e32 v31, v24, v31
	v_sub_f16_e32 v15, v23, v15
	;; [unrolled: 1-line block ×8, first 2 shown]
	v_fma_f16 v27, v27, 2.0, -v35
	v_fma_f16 v11, v11, 2.0, -v19
	;; [unrolled: 1-line block ×4, first 2 shown]
	v_sub_f16_e32 v32, v55, v32
	v_sub_f16_e32 v16, v8, v16
	;; [unrolled: 1-line block ×9, first 2 shown]
	v_add_f16_e32 v35, v15, v35
	v_sub_f16_e32 v21, v33, v21
	v_add_f16_e32 v37, v17, v37
	v_fma_f16 v24, v24, 2.0, -v31
	v_fma_f16 v23, v23, 2.0, -v15
	;; [unrolled: 1-line block ×16, first 2 shown]
	v_sub_f16_e32 v27, v24, v27
	v_sub_f16_e32 v11, v23, v11
	;; [unrolled: 1-line block ×7, first 2 shown]
	v_add_f16_e32 v36, v16, v36
	v_sub_f16_e32 v30, v26, v30
	v_sub_f16_e32 v14, v10, v14
	;; [unrolled: 1-line block ×3, first 2 shown]
	v_add_f16_e32 v38, v18, v38
	v_fma_f16 v40, v33, s2, v31
	v_fma_f16 v41, v17, s2, v15
	v_fma_f16 v24, v24, 2.0, -v27
	v_fma_f16 v23, v23, 2.0, -v11
	;; [unrolled: 1-line block ×12, first 2 shown]
	v_fma_f16 v17, v17, s2, v40
	v_fma_f16 v33, v33, s3, v41
	v_fma_f16 v40, v21, s3, v19
	v_fma_f16 v41, v37, s3, v35
	v_sub_f16_e32 v25, v24, v25
	v_sub_f16_e32 v9, v23, v9
	v_fma_f16 v37, v37, s2, v40
	v_fma_f16 v21, v21, s3, v41
	v_sub_f16_e32 v26, v39, v26
	v_sub_f16_e32 v10, v8, v10
	v_fma_f16 v40, v34, s2, v32
	v_fma_f16 v41, v18, s2, v16
	v_fma_f16 v24, v24, 2.0, -v25
	v_fma_f16 v23, v23, 2.0, -v9
	v_fma_f16 v39, v39, 2.0, -v26
	v_fma_f16 v8, v8, 2.0, -v10
	v_fma_f16 v18, v18, s2, v40
	v_fma_f16 v34, v34, s3, v41
	;; [unrolled: 1-line block ×3, first 2 shown]
	v_fma_f16 v31, v31, 2.0, -v17
	v_fma_f16 v15, v15, 2.0, -v33
	;; [unrolled: 1-line block ×4, first 2 shown]
	v_fma_f16 v41, v38, s3, v36
	v_fma_f16 v38, v38, s2, v40
	v_sub_f16_e32 v39, v24, v39
	v_sub_f16_e32 v40, v23, v8
	;; [unrolled: 1-line block ×3, first 2 shown]
	v_add_f16_e32 v29, v11, v29
	v_sub_f16_e32 v14, v28, v14
	v_add_f16_e32 v30, v12, v30
	v_fma_f16 v22, v22, s3, v41
	v_fma_f16 v8, v24, 2.0, -v39
	v_fma_f16 v24, v23, 2.0, -v40
	v_fma_f16 v23, v32, s4, v31
	v_fma_f16 v41, v16, s4, v15
	v_fma_f16 v27, v27, 2.0, -v13
	v_fma_f16 v11, v11, 2.0, -v29
	;; [unrolled: 1-line block ×4, first 2 shown]
	v_fma_f16 v16, v16, s6, v23
	v_fma_f16 v32, v32, s5, v41
	v_fma_f16 v23, v31, 2.0, -v16
	v_fma_f16 v31, v15, 2.0, -v32
	v_fma_f16 v15, v28, s2, v27
	v_fma_f16 v41, v12, s2, v11
	v_fma_f16 v19, v19, 2.0, -v37
	v_fma_f16 v35, v35, 2.0, -v21
	;; [unrolled: 1-line block ×4, first 2 shown]
	v_fma_f16 v12, v12, s2, v15
	v_fma_f16 v28, v28, s3, v41
	v_fma_f16 v15, v27, 2.0, -v12
	v_fma_f16 v27, v11, 2.0, -v28
	v_fma_f16 v11, v20, s6, v19
	v_fma_f16 v41, v36, s6, v35
	v_sub_f16_e32 v10, v25, v10
	v_add_f16_e32 v26, v9, v26
	v_fma_f16 v11, v36, s4, v11
	v_fma_f16 v36, v20, s7, v41
	v_fma_f16 v20, v25, 2.0, -v10
	v_fma_f16 v25, v9, 2.0, -v26
	v_fma_f16 v9, v18, s5, v17
	v_fma_f16 v41, v34, s5, v33
	;; [unrolled: 1-line block ×12, first 2 shown]
	v_fma_f16 v22, v37, 2.0, -v14
	v_fma_f16 v37, v21, 2.0, -v38
	v_lshl_or_b32 v21, v0, 4, v0
	v_and_b32_e32 v21, 0xf0f, v21
	v_fma_f16 v19, v19, 2.0, -v11
	v_fma_f16 v17, v17, 2.0, -v9
	;; [unrolled: 1-line block ×3, first 2 shown]
	v_lshl_add_u32 v41, v21, 1, 0
	ds_write_b16 v41, v8
	ds_write_b16 v41, v23 offset:32
	ds_write_b16 v41, v15 offset:64
	;; [unrolled: 1-line block ×15, first 2 shown]
	s_waitcnt lgkmcnt(0)
	s_barrier
	ds_read_u16 v8, v1
	ds_read_u16 v17, v1 offset:512
	ds_read_u16 v19, v1 offset:1024
	;; [unrolled: 1-line block ×15, first 2 shown]
	v_fma_f16 v35, v35, 2.0, -v36
	v_fma_f16 v33, v33, 2.0, -v34
	;; [unrolled: 1-line block ×3, first 2 shown]
	s_waitcnt lgkmcnt(0)
	s_barrier
	ds_write_b16 v41, v24
	ds_write_b16 v41, v31 offset:32
	ds_write_b16 v41, v27 offset:64
	;; [unrolled: 1-line block ×15, first 2 shown]
	s_waitcnt lgkmcnt(0)
	s_barrier
	s_and_saveexec_b64 s[8:9], vcc
	s_cbranch_execz .LBB0_15
; %bb.14:
	v_mul_u32_u24_e32 v1, 15, v0
	v_lshlrev_b32_e32 v1, 2, v1
	global_load_dwordx4 v[24:27], v1, s[12:13] offset:960
	global_load_dwordx4 v[28:31], v1, s[12:13] offset:992
	;; [unrolled: 1-line block ×3, first 2 shown]
	global_load_dwordx3 v[36:38], v1, s[12:13] offset:1008
	v_mul_i32_i24_e32 v39, 0xffffffe2, v0
	v_mul_lo_u32 v40, s1, v6
	v_mul_lo_u32 v7, s0, v7
	v_mad_u64_u32 v[0:1], s[0:1], s0, v6, 0
	v_add_u32_e32 v5, v5, v39
	v_add3_u32 v1, v1, v7, v40
	ds_read_u16 v6, v5 offset:1024
	ds_read_u16 v7, v5 offset:4096
	;; [unrolled: 1-line block ×15, first 2 shown]
	ds_read_u16 v5, v5
	v_lshlrev_b64 v[0:1], 2, v[0:1]
	s_waitcnt vmcnt(3) lgkmcnt(14)
	v_mul_f16_sdwa v52, v6, v25 dst_sel:DWORD dst_unused:UNUSED_PAD src0_sel:DWORD src1_sel:WORD_1
	s_waitcnt vmcnt(2) lgkmcnt(3)
	v_mul_f16_sdwa v53, v49, v29 dst_sel:DWORD dst_unused:UNUSED_PAD src0_sel:DWORD src1_sel:WORD_1
	v_fma_f16 v53, v22, v29, -v53
	v_mul_f16_sdwa v22, v22, v29 dst_sel:DWORD dst_unused:UNUSED_PAD src0_sel:DWORD src1_sel:WORD_1
	v_fma_f16 v52, v19, v25, -v52
	v_mul_f16_sdwa v19, v19, v25 dst_sel:DWORD dst_unused:UNUSED_PAD src0_sel:DWORD src1_sel:WORD_1
	v_fma_f16 v22, v29, v49, v22
	s_waitcnt vmcnt(0)
	v_mul_f16_sdwa v29, v44, v38 dst_sel:DWORD dst_unused:UNUSED_PAD src0_sel:DWORD src1_sel:WORD_1
	v_mul_f16_sdwa v54, v21, v33 dst_sel:DWORD dst_unused:UNUSED_PAD src0_sel:DWORD src1_sel:WORD_1
	v_fma_f16 v6, v25, v6, v19
	v_mul_f16_sdwa v25, v20, v38 dst_sel:DWORD dst_unused:UNUSED_PAD src0_sel:DWORD src1_sel:WORD_1
	v_fma_f16 v20, v20, v38, -v29
	s_waitcnt lgkmcnt(1)
	v_mul_f16_sdwa v29, v51, v24 dst_sel:DWORD dst_unused:UNUSED_PAD src0_sel:DWORD src1_sel:WORD_1
	v_fma_f16 v54, v40, v33, v54
	v_mul_f16_sdwa v40, v40, v33 dst_sel:DWORD dst_unused:UNUSED_PAD src0_sel:DWORD src1_sel:WORD_1
	v_fma_f16 v29, v17, v24, -v29
	v_mul_f16_sdwa v17, v17, v24 dst_sel:DWORD dst_unused:UNUSED_PAD src0_sel:DWORD src1_sel:WORD_1
	v_mul_f16_sdwa v55, v23, v37 dst_sel:DWORD dst_unused:UNUSED_PAD src0_sel:DWORD src1_sel:WORD_1
	v_fma_f16 v21, v21, v33, -v40
	v_mul_f16_sdwa v33, v43, v26 dst_sel:DWORD dst_unused:UNUSED_PAD src0_sel:DWORD src1_sel:WORD_1
	v_fma_f16 v17, v24, v51, v17
	v_mul_f16_sdwa v24, v15, v36 dst_sel:DWORD dst_unused:UNUSED_PAD src0_sel:DWORD src1_sel:WORD_1
	v_fma_f16 v55, v45, v37, v55
	v_mul_f16_sdwa v45, v45, v37 dst_sel:DWORD dst_unused:UNUSED_PAD src0_sel:DWORD src1_sel:WORD_1
	v_fma_f16 v33, v18, v26, -v33
	v_mul_f16_sdwa v18, v18, v26 dst_sel:DWORD dst_unused:UNUSED_PAD src0_sel:DWORD src1_sel:WORD_1
	v_fma_f16 v24, v46, v36, v24
	v_mul_f16_sdwa v46, v46, v36 dst_sel:DWORD dst_unused:UNUSED_PAD src0_sel:DWORD src1_sel:WORD_1
	v_mul_f16_sdwa v56, v7, v35 dst_sel:DWORD dst_unused:UNUSED_PAD src0_sel:DWORD src1_sel:WORD_1
	;; [unrolled: 1-line block ×4, first 2 shown]
	v_fma_f16 v23, v23, v37, -v45
	v_mul_f16_sdwa v37, v48, v30 dst_sel:DWORD dst_unused:UNUSED_PAD src0_sel:DWORD src1_sel:WORD_1
	v_fma_f16 v18, v26, v43, v18
	v_mul_f16_sdwa v26, v50, v28 dst_sel:DWORD dst_unused:UNUSED_PAD src0_sel:DWORD src1_sel:WORD_1
	v_fma_f16 v15, v15, v36, -v46
	v_mul_f16_sdwa v36, v11, v32 dst_sel:DWORD dst_unused:UNUSED_PAD src0_sel:DWORD src1_sel:WORD_1
	v_mul_f16_sdwa v19, v13, v34 dst_sel:DWORD dst_unused:UNUSED_PAD src0_sel:DWORD src1_sel:WORD_1
	v_fma_f16 v25, v44, v38, v25
	v_fma_f16 v38, v42, v27, v57
	v_mul_f16_sdwa v40, v42, v27 dst_sel:DWORD dst_unused:UNUSED_PAD src0_sel:DWORD src1_sel:WORD_1
	v_fma_f16 v42, v9, v35, -v56
	v_fma_f16 v43, v47, v31, v58
	v_fma_f16 v37, v14, v30, -v37
	v_fma_f16 v26, v12, v28, -v26
	v_fma_f16 v36, v41, v32, v36
	v_mul_f16_sdwa v14, v14, v30 dst_sel:DWORD dst_unused:UNUSED_PAD src0_sel:DWORD src1_sel:WORD_1
	v_mul_f16_sdwa v41, v41, v32 dst_sel:DWORD dst_unused:UNUSED_PAD src0_sel:DWORD src1_sel:WORD_1
	;; [unrolled: 1-line block ×5, first 2 shown]
	v_fma_f16 v19, v39, v34, v19
	v_fma_f16 v16, v16, v27, -v40
	v_mul_f16_sdwa v39, v39, v34 dst_sel:DWORD dst_unused:UNUSED_PAD src0_sel:DWORD src1_sel:WORD_1
	v_fma_f16 v14, v30, v48, v14
	v_fma_f16 v11, v11, v32, -v41
	v_fma_f16 v12, v28, v50, v12
	v_fma_f16 v10, v10, v31, -v47
	v_fma_f16 v7, v35, v7, v9
	v_sub_f16_e32 v40, v54, v55
	v_sub_f16_e32 v42, v8, v42
	;; [unrolled: 1-line block ×5, first 2 shown]
	v_fma_f16 v13, v13, v34, -v39
	v_sub_f16_e32 v14, v18, v14
	v_sub_f16_e32 v15, v11, v15
	;; [unrolled: 1-line block ×4, first 2 shown]
	s_waitcnt lgkmcnt(0)
	v_sub_f16_e32 v7, v5, v7
	v_sub_f16_e32 v37, v33, v37
	v_sub_f16_e32 v24, v36, v24
	v_sub_f16_e32 v20, v13, v20
	v_add_f16_e32 v28, v12, v15
	v_add_f16_e32 v9, v10, v7
	v_fma_f16 v29, v29, 2.0, -v26
	v_fma_f16 v11, v11, 2.0, -v15
	;; [unrolled: 1-line block ×8, first 2 shown]
	v_add_f16_e32 v30, v14, v20
	v_sub_f16_e32 v11, v29, v11
	v_sub_f16_e32 v18, v15, v18
	;; [unrolled: 1-line block ×4, first 2 shown]
	v_fma_f16 v33, v33, 2.0, -v37
	v_fma_f16 v13, v13, 2.0, -v20
	;; [unrolled: 1-line block ×4, first 2 shown]
	v_sub_f16_e32 v27, v52, v53
	v_sub_f16_e32 v51, v37, v25
	;; [unrolled: 1-line block ×10, first 2 shown]
	v_fma_f16 v40, v19, s3, v25
	v_add_f16_e32 v24, v13, v20
	v_add_f16_e32 v49, v22, v23
	v_fma_f16 v36, v24, s2, v40
	v_fma_f16 v40, v52, 2.0, -v27
	v_fma_f16 v21, v21, 2.0, -v23
	v_fma_f16 v5, v5, 2.0, -v7
	v_fma_f16 v23, v38, 2.0, -v43
	v_sub_f16_e32 v21, v40, v21
	v_sub_f16_e32 v23, v5, v23
	v_add_f16_e32 v38, v21, v23
	v_sub_f16_e32 v45, v42, v43
	v_fma_f16 v43, v24, s3, v38
	v_fma_f16 v8, v8, 2.0, -v10
	v_fma_f16 v6, v6, 2.0, -v16
	;; [unrolled: 1-line block ×5, first 2 shown]
	v_fma_f16 v31, v49, s3, v9
	v_fma_f16 v43, v19, s3, v43
	v_fma_f16 v42, v42, 2.0, -v45
	v_fma_f16 v27, v27, 2.0, -v44
	v_fma_f16 v26, v26, 2.0, -v46
	v_fma_f16 v37, v37, 2.0, -v51
	v_fma_f16 v17, v17, 2.0, -v20
	v_fma_f16 v5, v5, 2.0, -v23
	v_fma_f16 v13, v33, 2.0, -v13
	v_fma_f16 v19, v11, s2, v10
	v_fma_f16 v20, v20, 2.0, -v24
	v_fma_f16 v23, v23, 2.0, -v38
	v_fma_f16 v53, v44, s3, v45
	v_fma_f16 v55, v51, s3, v46
	;; [unrolled: 1-line block ×4, first 2 shown]
	v_fma_f16 v22, v22, 2.0, -v49
	v_fma_f16 v48, v37, s2, v26
	v_fma_f16 v14, v14, 2.0, -v30
	v_fma_f16 v12, v12, 2.0, -v28
	;; [unrolled: 1-line block ×4, first 2 shown]
	v_sub_f16_e32 v6, v5, v6
	v_sub_f16_e32 v13, v16, v13
	v_fma_f16 v19, v20, s2, v19
	v_fma_f16 v20, v20, s2, v23
	;; [unrolled: 1-line block ×8, first 2 shown]
	v_sub_f16_e32 v15, v17, v15
	v_add_f16_e32 v29, v6, v13
	v_fma_f16 v11, v11, s3, v20
	v_fma_f16 v32, v51, s3, v32
	;; [unrolled: 1-line block ×4, first 2 shown]
	v_fma_f16 v21, v40, 2.0, -v21
	v_fma_f16 v33, v6, 2.0, -v29
	v_fma_f16 v20, v23, 2.0, -v11
	v_fma_f16 v23, v42, 2.0, -v44
	v_fma_f16 v24, v26, 2.0, -v30
	v_fma_f16 v13, v16, 2.0, -v13
	v_fma_f16 v5, v5, 2.0, -v6
	v_fma_f16 v6, v17, 2.0, -v15
	v_mov_b32_e32 v16, s11
	v_add_co_u32_e32 v17, vcc, s10, v0
	v_fma_f16 v53, v49, s2, v53
	v_fma_f16 v35, v32, s7, v31
	;; [unrolled: 1-line block ×3, first 2 shown]
	v_fma_f16 v50, v25, 2.0, -v36
	v_sub_f16_e32 v21, v8, v21
	v_fma_f16 v25, v24, s4, v23
	v_fma_f16 v12, v12, 2.0, -v14
	v_fma_f16 v7, v7, 2.0, -v22
	v_sub_f16_e32 v6, v5, v6
	v_addc_co_u32_e32 v16, vcc, v16, v1, vcc
	v_lshlrev_b64 v[0:1], 2, v[2:3]
	v_fma_f16 v39, v34, s7, v53
	v_fma_f16 v35, v34, s5, v35
	;; [unrolled: 1-line block ×4, first 2 shown]
	v_sub_f16_e32 v18, v21, v15
	v_fma_f16 v45, v45, 2.0, -v53
	v_fma_f16 v34, v46, 2.0, -v34
	v_fma_f16 v14, v12, s6, v25
	v_fma_f16 v12, v12, s4, v7
	v_fma_f16 v15, v5, 2.0, -v6
	v_mov_b32_e32 v5, 0
	v_add_co_u32_e32 v2, vcc, v17, v0
	v_fma_f16 v46, v34, s6, v45
	v_fma_f16 v28, v28, 2.0, -v32
	v_fma_f16 v9, v9, 2.0, -v31
	v_fma_f16 v12, v24, s5, v12
	v_addc_co_u32_e32 v3, vcc, v16, v1, vcc
	v_lshlrev_b64 v[0:1], 2, v[4:5]
	v_fma_f16 v39, v32, s6, v39
	v_fma_f16 v32, v28, s4, v46
	;; [unrolled: 1-line block ×3, first 2 shown]
	v_fma_f16 v23, v23, 2.0, -v14
	v_fma_f16 v7, v7, 2.0, -v12
	;; [unrolled: 1-line block ×3, first 2 shown]
	v_add_co_u32_e32 v0, vcc, v2, v0
	v_fma_f16 v28, v34, s7, v28
	v_fma_f16 v10, v10, 2.0, -v19
	v_sub_f16_e32 v13, v8, v13
	v_addc_co_u32_e32 v1, vcc, v3, v1, vcc
	v_pack_b32_f16 v7, v23, v7
	v_fma_f16 v45, v45, 2.0, -v32
	v_fma_f16 v9, v9, 2.0, -v28
	;; [unrolled: 1-line block ×3, first 2 shown]
	global_store_dword v[0:1], v7, off offset:1024
	v_pack_b32_f16 v7, v10, v20
	v_pack_b32_f16 v8, v8, v15
	global_store_dword v[0:1], v7, off offset:2048
	v_pack_b32_f16 v7, v45, v9
	global_store_dword v[0:1], v8, off
	global_store_dword v[0:1], v7, off offset:3072
	v_or_b32_e32 v0, 0x400, v4
	v_mov_b32_e32 v1, v5
	v_lshlrev_b64 v[0:1], 2, v[0:1]
	v_fma_f16 v40, v21, 2.0, -v18
	v_add_co_u32_e32 v0, vcc, v2, v0
	v_addc_co_u32_e32 v1, vcc, v3, v1, vcc
	v_pack_b32_f16 v7, v40, v33
	global_store_dword v[0:1], v7, off
	v_or_b32_e32 v0, 0x500, v4
	v_mov_b32_e32 v1, v5
	v_fma_f16 v27, v30, s7, v27
	v_lshlrev_b64 v[0:1], 2, v[0:1]
	v_fma_f16 v48, v44, 2.0, -v37
	v_fma_f16 v49, v22, 2.0, -v27
	v_add_co_u32_e32 v0, vcc, v2, v0
	v_addc_co_u32_e32 v1, vcc, v3, v1, vcc
	v_pack_b32_f16 v7, v48, v49
	global_store_dword v[0:1], v7, off
	v_or_b32_e32 v0, 0x600, v4
	v_mov_b32_e32 v1, v5
	v_lshlrev_b64 v[0:1], 2, v[0:1]
	v_fma_f16 v51, v38, 2.0, -v43
	v_add_co_u32_e32 v0, vcc, v2, v0
	v_addc_co_u32_e32 v1, vcc, v3, v1, vcc
	v_pack_b32_f16 v7, v50, v51
	global_store_dword v[0:1], v7, off
	v_or_b32_e32 v0, 0x700, v4
	v_mov_b32_e32 v1, v5
	v_lshlrev_b64 v[0:1], 2, v[0:1]
	v_fma_f16 v41, v53, 2.0, -v39
	v_fma_f16 v47, v31, 2.0, -v35
	v_add_co_u32_e32 v0, vcc, v2, v0
	v_addc_co_u32_e32 v1, vcc, v3, v1, vcc
	v_pack_b32_f16 v7, v41, v47
	global_store_dword v[0:1], v7, off
	v_or_b32_e32 v0, 0x800, v4
	v_mov_b32_e32 v1, v5
	v_lshlrev_b64 v[0:1], 2, v[0:1]
	v_add_co_u32_e32 v0, vcc, v2, v0
	v_addc_co_u32_e32 v1, vcc, v3, v1, vcc
	v_pack_b32_f16 v6, v13, v6
	global_store_dword v[0:1], v6, off
	v_or_b32_e32 v0, 0x900, v4
	v_mov_b32_e32 v1, v5
	v_lshlrev_b64 v[0:1], 2, v[0:1]
	;; [unrolled: 7-line block ×7, first 2 shown]
	v_add_co_u32_e32 v0, vcc, v2, v0
	v_addc_co_u32_e32 v1, vcc, v3, v1, vcc
	v_pack_b32_f16 v6, v36, v43
	v_or_b32_e32 v4, 0xf00, v4
	global_store_dword v[0:1], v6, off
	v_lshlrev_b64 v[0:1], 2, v[4:5]
	v_add_co_u32_e32 v0, vcc, v2, v0
	v_addc_co_u32_e32 v1, vcc, v3, v1, vcc
	v_pack_b32_f16 v2, v39, v35
	global_store_dword v[0:1], v2, off
.LBB0_15:
	s_endpgm
	.section	.rodata,"a",@progbits
	.p2align	6, 0x0
	.amdhsa_kernel fft_rtc_fwd_len4096_factors_16_16_16_wgs_256_tpt_256_halfLds_half_op_CI_CI_unitstride_sbrr_dirReg
		.amdhsa_group_segment_fixed_size 0
		.amdhsa_private_segment_fixed_size 0
		.amdhsa_kernarg_size 104
		.amdhsa_user_sgpr_count 6
		.amdhsa_user_sgpr_private_segment_buffer 1
		.amdhsa_user_sgpr_dispatch_ptr 0
		.amdhsa_user_sgpr_queue_ptr 0
		.amdhsa_user_sgpr_kernarg_segment_ptr 1
		.amdhsa_user_sgpr_dispatch_id 0
		.amdhsa_user_sgpr_flat_scratch_init 0
		.amdhsa_user_sgpr_kernarg_preload_length 0
		.amdhsa_user_sgpr_kernarg_preload_offset 0
		.amdhsa_user_sgpr_private_segment_size 0
		.amdhsa_uses_dynamic_stack 0
		.amdhsa_system_sgpr_private_segment_wavefront_offset 0
		.amdhsa_system_sgpr_workgroup_id_x 1
		.amdhsa_system_sgpr_workgroup_id_y 0
		.amdhsa_system_sgpr_workgroup_id_z 0
		.amdhsa_system_sgpr_workgroup_info 0
		.amdhsa_system_vgpr_workitem_id 0
		.amdhsa_next_free_vgpr 59
		.amdhsa_next_free_sgpr 28
		.amdhsa_accum_offset 60
		.amdhsa_reserve_vcc 1
		.amdhsa_reserve_flat_scratch 0
		.amdhsa_float_round_mode_32 0
		.amdhsa_float_round_mode_16_64 0
		.amdhsa_float_denorm_mode_32 3
		.amdhsa_float_denorm_mode_16_64 3
		.amdhsa_dx10_clamp 1
		.amdhsa_ieee_mode 1
		.amdhsa_fp16_overflow 0
		.amdhsa_tg_split 0
		.amdhsa_exception_fp_ieee_invalid_op 0
		.amdhsa_exception_fp_denorm_src 0
		.amdhsa_exception_fp_ieee_div_zero 0
		.amdhsa_exception_fp_ieee_overflow 0
		.amdhsa_exception_fp_ieee_underflow 0
		.amdhsa_exception_fp_ieee_inexact 0
		.amdhsa_exception_int_div_zero 0
	.end_amdhsa_kernel
	.text
.Lfunc_end0:
	.size	fft_rtc_fwd_len4096_factors_16_16_16_wgs_256_tpt_256_halfLds_half_op_CI_CI_unitstride_sbrr_dirReg, .Lfunc_end0-fft_rtc_fwd_len4096_factors_16_16_16_wgs_256_tpt_256_halfLds_half_op_CI_CI_unitstride_sbrr_dirReg
                                        ; -- End function
	.section	.AMDGPU.csdata,"",@progbits
; Kernel info:
; codeLenInByte = 7764
; NumSgprs: 32
; NumVgprs: 59
; NumAgprs: 0
; TotalNumVgprs: 59
; ScratchSize: 0
; MemoryBound: 0
; FloatMode: 240
; IeeeMode: 1
; LDSByteSize: 0 bytes/workgroup (compile time only)
; SGPRBlocks: 3
; VGPRBlocks: 7
; NumSGPRsForWavesPerEU: 32
; NumVGPRsForWavesPerEU: 59
; AccumOffset: 60
; Occupancy: 8
; WaveLimiterHint : 1
; COMPUTE_PGM_RSRC2:SCRATCH_EN: 0
; COMPUTE_PGM_RSRC2:USER_SGPR: 6
; COMPUTE_PGM_RSRC2:TRAP_HANDLER: 0
; COMPUTE_PGM_RSRC2:TGID_X_EN: 1
; COMPUTE_PGM_RSRC2:TGID_Y_EN: 0
; COMPUTE_PGM_RSRC2:TGID_Z_EN: 0
; COMPUTE_PGM_RSRC2:TIDIG_COMP_CNT: 0
; COMPUTE_PGM_RSRC3_GFX90A:ACCUM_OFFSET: 14
; COMPUTE_PGM_RSRC3_GFX90A:TG_SPLIT: 0
	.text
	.p2alignl 6, 3212836864
	.fill 256, 4, 3212836864
	.type	__hip_cuid_2cf349d8800828ad,@object ; @__hip_cuid_2cf349d8800828ad
	.section	.bss,"aw",@nobits
	.globl	__hip_cuid_2cf349d8800828ad
__hip_cuid_2cf349d8800828ad:
	.byte	0                               ; 0x0
	.size	__hip_cuid_2cf349d8800828ad, 1

	.ident	"AMD clang version 19.0.0git (https://github.com/RadeonOpenCompute/llvm-project roc-6.4.0 25133 c7fe45cf4b819c5991fe208aaa96edf142730f1d)"
	.section	".note.GNU-stack","",@progbits
	.addrsig
	.addrsig_sym __hip_cuid_2cf349d8800828ad
	.amdgpu_metadata
---
amdhsa.kernels:
  - .agpr_count:     0
    .args:
      - .actual_access:  read_only
        .address_space:  global
        .offset:         0
        .size:           8
        .value_kind:     global_buffer
      - .offset:         8
        .size:           8
        .value_kind:     by_value
      - .actual_access:  read_only
        .address_space:  global
        .offset:         16
        .size:           8
        .value_kind:     global_buffer
      - .actual_access:  read_only
        .address_space:  global
        .offset:         24
        .size:           8
        .value_kind:     global_buffer
      - .actual_access:  read_only
        .address_space:  global
        .offset:         32
        .size:           8
        .value_kind:     global_buffer
      - .offset:         40
        .size:           8
        .value_kind:     by_value
      - .actual_access:  read_only
        .address_space:  global
        .offset:         48
        .size:           8
        .value_kind:     global_buffer
      - .actual_access:  read_only
        .address_space:  global
        .offset:         56
        .size:           8
        .value_kind:     global_buffer
      - .offset:         64
        .size:           4
        .value_kind:     by_value
      - .actual_access:  read_only
        .address_space:  global
        .offset:         72
        .size:           8
        .value_kind:     global_buffer
      - .actual_access:  read_only
        .address_space:  global
        .offset:         80
        .size:           8
        .value_kind:     global_buffer
      - .actual_access:  read_only
        .address_space:  global
        .offset:         88
        .size:           8
        .value_kind:     global_buffer
      - .actual_access:  write_only
        .address_space:  global
        .offset:         96
        .size:           8
        .value_kind:     global_buffer
    .group_segment_fixed_size: 0
    .kernarg_segment_align: 8
    .kernarg_segment_size: 104
    .language:       OpenCL C
    .language_version:
      - 2
      - 0
    .max_flat_workgroup_size: 256
    .name:           fft_rtc_fwd_len4096_factors_16_16_16_wgs_256_tpt_256_halfLds_half_op_CI_CI_unitstride_sbrr_dirReg
    .private_segment_fixed_size: 0
    .sgpr_count:     32
    .sgpr_spill_count: 0
    .symbol:         fft_rtc_fwd_len4096_factors_16_16_16_wgs_256_tpt_256_halfLds_half_op_CI_CI_unitstride_sbrr_dirReg.kd
    .uniform_work_group_size: 1
    .uses_dynamic_stack: false
    .vgpr_count:     59
    .vgpr_spill_count: 0
    .wavefront_size: 64
amdhsa.target:   amdgcn-amd-amdhsa--gfx90a
amdhsa.version:
  - 1
  - 2
...

	.end_amdgpu_metadata
